;; amdgpu-corpus repo=ROCm/rocFFT kind=compiled arch=gfx906 opt=O3
	.text
	.amdgcn_target "amdgcn-amd-amdhsa--gfx906"
	.amdhsa_code_object_version 6
	.protected	fft_rtc_back_len77_factors_7_11_wgs_253_tpt_11_halfLds_dp_ip_CI_sbrr_dirReg ; -- Begin function fft_rtc_back_len77_factors_7_11_wgs_253_tpt_11_halfLds_dp_ip_CI_sbrr_dirReg
	.globl	fft_rtc_back_len77_factors_7_11_wgs_253_tpt_11_halfLds_dp_ip_CI_sbrr_dirReg
	.p2align	8
	.type	fft_rtc_back_len77_factors_7_11_wgs_253_tpt_11_halfLds_dp_ip_CI_sbrr_dirReg,@function
fft_rtc_back_len77_factors_7_11_wgs_253_tpt_11_halfLds_dp_ip_CI_sbrr_dirReg: ; @fft_rtc_back_len77_factors_7_11_wgs_253_tpt_11_halfLds_dp_ip_CI_sbrr_dirReg
; %bb.0:
	s_load_dwordx2 s[14:15], s[4:5], 0x18
	s_load_dwordx4 s[8:11], s[4:5], 0x0
	s_load_dwordx2 s[12:13], s[4:5], 0x50
	v_mul_u32_u24_e32 v1, 0x1746, v0
	v_lshrrev_b32_e32 v1, 16, v1
	s_waitcnt lgkmcnt(0)
	s_load_dwordx2 s[2:3], s[14:15], 0x0
	v_mad_u64_u32 v[1:2], s[0:1], s6, 23, v[1:2]
	v_mov_b32_e32 v5, 0
	v_cmp_lt_u64_e64 s[0:1], s[10:11], 2
	v_mov_b32_e32 v2, v5
	v_mov_b32_e32 v3, 0
	;; [unrolled: 1-line block ×3, first 2 shown]
	s_and_b64 vcc, exec, s[0:1]
	v_mov_b32_e32 v4, 0
	v_mov_b32_e32 v9, v1
	s_cbranch_vccnz .LBB0_8
; %bb.1:
	s_load_dwordx2 s[0:1], s[4:5], 0x10
	s_add_u32 s6, s14, 8
	s_addc_u32 s7, s15, 0
	v_mov_b32_e32 v3, 0
	v_mov_b32_e32 v8, v2
	s_waitcnt lgkmcnt(0)
	s_add_u32 s18, s0, 8
	s_mov_b64 s[16:17], 1
	v_mov_b32_e32 v4, 0
	s_addc_u32 s19, s1, 0
	v_mov_b32_e32 v7, v1
.LBB0_2:                                ; =>This Inner Loop Header: Depth=1
	s_load_dwordx2 s[20:21], s[18:19], 0x0
                                        ; implicit-def: $vgpr9_vgpr10
	s_waitcnt lgkmcnt(0)
	v_or_b32_e32 v6, s21, v8
	v_cmp_ne_u64_e32 vcc, 0, v[5:6]
	s_and_saveexec_b64 s[0:1], vcc
	s_xor_b64 s[22:23], exec, s[0:1]
	s_cbranch_execz .LBB0_4
; %bb.3:                                ;   in Loop: Header=BB0_2 Depth=1
	v_cvt_f32_u32_e32 v2, s20
	v_cvt_f32_u32_e32 v6, s21
	s_sub_u32 s0, 0, s20
	s_subb_u32 s1, 0, s21
	v_mac_f32_e32 v2, 0x4f800000, v6
	v_rcp_f32_e32 v2, v2
	v_mul_f32_e32 v2, 0x5f7ffffc, v2
	v_mul_f32_e32 v6, 0x2f800000, v2
	v_trunc_f32_e32 v6, v6
	v_mac_f32_e32 v2, 0xcf800000, v6
	v_cvt_u32_f32_e32 v6, v6
	v_cvt_u32_f32_e32 v2, v2
	v_mul_lo_u32 v9, s0, v6
	v_mul_hi_u32 v10, s0, v2
	v_mul_lo_u32 v12, s1, v2
	v_mul_lo_u32 v11, s0, v2
	v_add_u32_e32 v9, v10, v9
	v_add_u32_e32 v9, v9, v12
	v_mul_hi_u32 v10, v2, v11
	v_mul_lo_u32 v12, v2, v9
	v_mul_hi_u32 v14, v2, v9
	v_mul_hi_u32 v13, v6, v11
	v_mul_lo_u32 v11, v6, v11
	v_mul_hi_u32 v15, v6, v9
	v_add_co_u32_e32 v10, vcc, v10, v12
	v_addc_co_u32_e32 v12, vcc, 0, v14, vcc
	v_mul_lo_u32 v9, v6, v9
	v_add_co_u32_e32 v10, vcc, v10, v11
	v_addc_co_u32_e32 v10, vcc, v12, v13, vcc
	v_addc_co_u32_e32 v11, vcc, 0, v15, vcc
	v_add_co_u32_e32 v9, vcc, v10, v9
	v_addc_co_u32_e32 v10, vcc, 0, v11, vcc
	v_add_co_u32_e32 v2, vcc, v2, v9
	v_addc_co_u32_e32 v6, vcc, v6, v10, vcc
	v_mul_lo_u32 v9, s0, v6
	v_mul_hi_u32 v10, s0, v2
	v_mul_lo_u32 v11, s1, v2
	v_mul_lo_u32 v12, s0, v2
	v_add_u32_e32 v9, v10, v9
	v_add_u32_e32 v9, v9, v11
	v_mul_lo_u32 v13, v2, v9
	v_mul_hi_u32 v14, v2, v12
	v_mul_hi_u32 v15, v2, v9
	;; [unrolled: 1-line block ×3, first 2 shown]
	v_mul_lo_u32 v12, v6, v12
	v_mul_hi_u32 v10, v6, v9
	v_add_co_u32_e32 v13, vcc, v14, v13
	v_addc_co_u32_e32 v14, vcc, 0, v15, vcc
	v_mul_lo_u32 v9, v6, v9
	v_add_co_u32_e32 v12, vcc, v13, v12
	v_addc_co_u32_e32 v11, vcc, v14, v11, vcc
	v_addc_co_u32_e32 v10, vcc, 0, v10, vcc
	v_add_co_u32_e32 v9, vcc, v11, v9
	v_addc_co_u32_e32 v10, vcc, 0, v10, vcc
	v_add_co_u32_e32 v2, vcc, v2, v9
	v_addc_co_u32_e32 v6, vcc, v6, v10, vcc
	v_mad_u64_u32 v[9:10], s[0:1], v7, v6, 0
	v_mul_hi_u32 v11, v7, v2
	v_add_co_u32_e32 v13, vcc, v11, v9
	v_addc_co_u32_e32 v14, vcc, 0, v10, vcc
	v_mad_u64_u32 v[9:10], s[0:1], v8, v2, 0
	v_mad_u64_u32 v[11:12], s[0:1], v8, v6, 0
	v_add_co_u32_e32 v2, vcc, v13, v9
	v_addc_co_u32_e32 v2, vcc, v14, v10, vcc
	v_addc_co_u32_e32 v6, vcc, 0, v12, vcc
	v_add_co_u32_e32 v2, vcc, v2, v11
	v_addc_co_u32_e32 v6, vcc, 0, v6, vcc
	v_mul_lo_u32 v11, s21, v2
	v_mul_lo_u32 v12, s20, v6
	v_mad_u64_u32 v[9:10], s[0:1], s20, v2, 0
	v_add3_u32 v10, v10, v12, v11
	v_sub_u32_e32 v11, v8, v10
	v_mov_b32_e32 v12, s21
	v_sub_co_u32_e32 v9, vcc, v7, v9
	v_subb_co_u32_e64 v11, s[0:1], v11, v12, vcc
	v_subrev_co_u32_e64 v12, s[0:1], s20, v9
	v_subbrev_co_u32_e64 v11, s[0:1], 0, v11, s[0:1]
	v_cmp_le_u32_e64 s[0:1], s21, v11
	v_cndmask_b32_e64 v13, 0, -1, s[0:1]
	v_cmp_le_u32_e64 s[0:1], s20, v12
	v_cndmask_b32_e64 v12, 0, -1, s[0:1]
	v_cmp_eq_u32_e64 s[0:1], s21, v11
	v_cndmask_b32_e64 v11, v13, v12, s[0:1]
	v_add_co_u32_e64 v12, s[0:1], 2, v2
	v_addc_co_u32_e64 v13, s[0:1], 0, v6, s[0:1]
	v_add_co_u32_e64 v14, s[0:1], 1, v2
	v_addc_co_u32_e64 v15, s[0:1], 0, v6, s[0:1]
	v_subb_co_u32_e32 v10, vcc, v8, v10, vcc
	v_cmp_ne_u32_e64 s[0:1], 0, v11
	v_cmp_le_u32_e32 vcc, s21, v10
	v_cndmask_b32_e64 v11, v15, v13, s[0:1]
	v_cndmask_b32_e64 v13, 0, -1, vcc
	v_cmp_le_u32_e32 vcc, s20, v9
	v_cndmask_b32_e64 v9, 0, -1, vcc
	v_cmp_eq_u32_e32 vcc, s21, v10
	v_cndmask_b32_e32 v9, v13, v9, vcc
	v_cmp_ne_u32_e32 vcc, 0, v9
	v_cndmask_b32_e32 v10, v6, v11, vcc
	v_cndmask_b32_e64 v6, v14, v12, s[0:1]
	v_cndmask_b32_e32 v9, v2, v6, vcc
.LBB0_4:                                ;   in Loop: Header=BB0_2 Depth=1
	s_andn2_saveexec_b64 s[0:1], s[22:23]
	s_cbranch_execz .LBB0_6
; %bb.5:                                ;   in Loop: Header=BB0_2 Depth=1
	v_cvt_f32_u32_e32 v2, s20
	s_sub_i32 s22, 0, s20
	v_rcp_iflag_f32_e32 v2, v2
	v_mul_f32_e32 v2, 0x4f7ffffe, v2
	v_cvt_u32_f32_e32 v2, v2
	v_mul_lo_u32 v6, s22, v2
	v_mul_hi_u32 v6, v2, v6
	v_add_u32_e32 v2, v2, v6
	v_mul_hi_u32 v2, v7, v2
	v_mul_lo_u32 v6, v2, s20
	v_add_u32_e32 v9, 1, v2
	v_sub_u32_e32 v6, v7, v6
	v_subrev_u32_e32 v10, s20, v6
	v_cmp_le_u32_e32 vcc, s20, v6
	v_cndmask_b32_e32 v6, v6, v10, vcc
	v_cndmask_b32_e32 v2, v2, v9, vcc
	v_add_u32_e32 v9, 1, v2
	v_cmp_le_u32_e32 vcc, s20, v6
	v_cndmask_b32_e32 v9, v2, v9, vcc
	v_mov_b32_e32 v10, v5
.LBB0_6:                                ;   in Loop: Header=BB0_2 Depth=1
	s_or_b64 exec, exec, s[0:1]
	v_mul_lo_u32 v2, v10, s20
	v_mul_lo_u32 v6, v9, s21
	v_mad_u64_u32 v[11:12], s[0:1], v9, s20, 0
	s_load_dwordx2 s[0:1], s[6:7], 0x0
	s_add_u32 s16, s16, 1
	v_add3_u32 v2, v12, v6, v2
	v_sub_co_u32_e32 v6, vcc, v7, v11
	v_subb_co_u32_e32 v2, vcc, v8, v2, vcc
	s_waitcnt lgkmcnt(0)
	v_mul_lo_u32 v2, s0, v2
	v_mul_lo_u32 v7, s1, v6
	v_mad_u64_u32 v[3:4], s[0:1], s0, v6, v[3:4]
	s_addc_u32 s17, s17, 0
	s_add_u32 s6, s6, 8
	v_add3_u32 v4, v7, v4, v2
	v_mov_b32_e32 v6, s10
	v_mov_b32_e32 v7, s11
	s_addc_u32 s7, s7, 0
	v_cmp_ge_u64_e32 vcc, s[16:17], v[6:7]
	s_add_u32 s18, s18, 8
	s_addc_u32 s19, s19, 0
	s_cbranch_vccnz .LBB0_8
; %bb.7:                                ;   in Loop: Header=BB0_2 Depth=1
	v_mov_b32_e32 v7, v9
	v_mov_b32_e32 v8, v10
	s_branch .LBB0_2
.LBB0_8:
	s_lshl_b64 s[0:1], s[10:11], 3
	s_add_u32 s0, s14, s0
	s_addc_u32 s1, s15, s1
	s_load_dwordx2 s[6:7], s[0:1], 0x0
	s_load_dwordx2 s[10:11], s[4:5], 0x20
                                        ; implicit-def: $vgpr16_vgpr17
                                        ; implicit-def: $vgpr28_vgpr29
                                        ; implicit-def: $vgpr20_vgpr21
                                        ; implicit-def: $vgpr24_vgpr25
                                        ; implicit-def: $vgpr36_vgpr37
                                        ; implicit-def: $vgpr32_vgpr33
                                        ; implicit-def: $vgpr12_vgpr13
	s_waitcnt lgkmcnt(0)
	v_mad_u64_u32 v[2:3], s[0:1], s6, v9, v[3:4]
	v_mul_lo_u32 v5, s6, v10
	v_mul_lo_u32 v6, s7, v9
	s_mov_b32 s0, 0x1745d175
	v_mul_hi_u32 v4, v0, s0
	v_cmp_gt_u64_e32 vcc, s[10:11], v[9:10]
	v_add3_u32 v3, v6, v3, v5
	v_lshlrev_b64 v[38:39], 4, v[2:3]
	v_mul_u32_u24_e32 v4, 11, v4
	v_sub_u32_e32 v94, v0, v4
	s_and_saveexec_b64 s[4:5], vcc
	s_cbranch_execz .LBB0_10
; %bb.9:
	v_mad_u64_u32 v[2:3], s[0:1], s2, v94, 0
	v_add_u32_e32 v7, 11, v94
	v_mov_b32_e32 v6, s13
	v_mov_b32_e32 v0, v3
	v_mad_u64_u32 v[3:4], s[0:1], s3, v94, v[0:1]
	v_mad_u64_u32 v[4:5], s[0:1], s2, v7, 0
	v_add_co_u32_e64 v16, s[0:1], s12, v38
	v_mov_b32_e32 v0, v5
	v_addc_co_u32_e64 v17, s[0:1], v6, v39, s[0:1]
	v_mad_u64_u32 v[5:6], s[0:1], s3, v7, v[0:1]
	v_add_u32_e32 v8, 22, v94
	v_mad_u64_u32 v[6:7], s[0:1], s2, v8, 0
	v_lshlrev_b64 v[2:3], 4, v[2:3]
	v_add_u32_e32 v10, 33, v94
	v_add_co_u32_e64 v2, s[0:1], v16, v2
	v_mov_b32_e32 v0, v7
	v_addc_co_u32_e64 v3, s[0:1], v17, v3, s[0:1]
	v_mad_u64_u32 v[7:8], s[0:1], s3, v8, v[0:1]
	v_mad_u64_u32 v[8:9], s[0:1], s2, v10, 0
	v_lshlrev_b64 v[4:5], 4, v[4:5]
	v_add_u32_e32 v12, 44, v94
	v_add_co_u32_e64 v4, s[0:1], v16, v4
	v_mov_b32_e32 v0, v9
	v_addc_co_u32_e64 v5, s[0:1], v17, v5, s[0:1]
	v_mad_u64_u32 v[9:10], s[0:1], s3, v10, v[0:1]
	;; [unrolled: 7-line block ×4, first 2 shown]
	v_mad_u64_u32 v[14:15], s[0:1], s2, v18, 0
	v_lshlrev_b64 v[10:11], 4, v[10:11]
	v_add_co_u32_e64 v40, s[0:1], v16, v10
	v_mov_b32_e32 v0, v15
	v_addc_co_u32_e64 v41, s[0:1], v17, v11, s[0:1]
	v_lshlrev_b64 v[10:11], 4, v[12:13]
	v_mad_u64_u32 v[12:13], s[0:1], s3, v18, v[0:1]
	v_add_co_u32_e64 v42, s[0:1], v16, v10
	v_mov_b32_e32 v15, v12
	v_addc_co_u32_e64 v43, s[0:1], v17, v11, s[0:1]
	v_lshlrev_b64 v[10:11], 4, v[14:15]
	v_add_co_u32_e64 v44, s[0:1], v16, v10
	v_addc_co_u32_e64 v45, s[0:1], v17, v11, s[0:1]
	global_load_dwordx4 v[10:13], v[2:3], off
	global_load_dwordx4 v[30:33], v[4:5], off
	;; [unrolled: 1-line block ×7, first 2 shown]
.LBB0_10:
	s_or_b64 exec, exec, s[4:5]
	s_waitcnt vmcnt(0)
	v_add_f64 v[2:3], v[14:15], v[30:31]
	v_add_f64 v[4:5], v[18:19], v[22:23]
	;; [unrolled: 1-line block ×3, first 2 shown]
	v_add_f64 v[8:9], v[36:37], -v[28:29]
	v_add_f64 v[40:41], v[20:21], -v[24:25]
	;; [unrolled: 1-line block ×3, first 2 shown]
	s_mov_b32 s6, 0x37e14327
	s_mov_b32 s4, 0x36b3c0b5
	;; [unrolled: 1-line block ×3, first 2 shown]
	v_add_f64 v[44:45], v[2:3], -v[4:5]
	v_add_f64 v[46:47], v[4:5], -v[6:7]
	v_add_f64 v[48:49], v[6:7], v[2:3]
	s_mov_b32 s5, 0x3fac98ee
	v_add_f64 v[2:3], v[6:7], -v[2:3]
	v_add_f64 v[6:7], v[40:41], v[8:9]
	v_add_f64 v[52:53], v[40:41], -v[8:9]
	v_add_f64 v[8:9], v[8:9], -v[42:43]
	v_mul_f64 v[44:45], v[44:45], s[6:7]
	v_mul_f64 v[50:51], v[46:47], s[4:5]
	v_add_f64 v[4:5], v[4:5], v[48:49]
	s_mov_b32 s10, 0x5476071b
	s_mov_b32 s26, 0xe976ee23
	;; [unrolled: 1-line block ×8, first 2 shown]
	v_add_f64 v[54:55], v[42:43], -v[40:41]
	v_add_f64 v[6:7], v[6:7], v[42:43]
	v_fma_f64 v[42:43], v[46:47], s[4:5], v[44:45]
	v_fma_f64 v[46:47], v[2:3], s[10:11], -v[50:51]
	v_fma_f64 v[2:3], v[2:3], s[14:15], -v[44:45]
	v_add_f64 v[40:41], v[10:11], v[4:5]
	v_mul_f64 v[10:11], v[52:53], s[26:27]
	v_mul_f64 v[44:45], v[8:9], s[16:17]
	s_mov_b32 s18, 0xaaaaaaaa
	s_mov_b32 s22, 0xb247c609
	;; [unrolled: 1-line block ×6, first 2 shown]
	v_fma_f64 v[4:5], v[4:5], s[18:19], v[40:41]
	v_fma_f64 v[8:9], v[8:9], s[16:17], -v[10:11]
	v_fma_f64 v[10:11], v[54:55], s[22:23], v[10:11]
	v_fma_f64 v[44:45], v[54:55], s[24:25], -v[44:45]
	s_mov_b32 s20, 0x37c3f68c
	s_mov_b32 s21, 0xbfdc38aa
	;; [unrolled: 1-line block ×3, first 2 shown]
	v_mul_hi_u32 v0, v1, s0
	v_add_f64 v[52:53], v[42:43], v[4:5]
	v_add_f64 v[46:47], v[46:47], v[4:5]
	;; [unrolled: 1-line block ×3, first 2 shown]
	v_fma_f64 v[4:5], v[6:7], s[20:21], v[10:11]
	v_fma_f64 v[8:9], v[6:7], s[20:21], v[8:9]
	;; [unrolled: 1-line block ×3, first 2 shown]
	v_lshrrev_b32_e32 v0, 4, v0
	v_mul_lo_u32 v0, v0, 23
	v_cmp_gt_u32_e64 s[0:1], 7, v94
                                        ; implicit-def: $vgpr10_vgpr11
	v_add_f64 v[50:51], v[4:5], v[52:53]
	v_add_f64 v[42:43], v[46:47], -v[8:9]
	v_add_f64 v[44:45], v[8:9], v[46:47]
	v_add_f64 v[46:47], v[6:7], v[2:3]
	v_add_f64 v[48:49], v[2:3], -v[6:7]
	v_add_f64 v[2:3], v[52:53], -v[4:5]
	v_sub_u32_e32 v0, v1, v0
	v_mul_u32_u24_e32 v1, 0x4d, v0
	v_mad_u32_u24 v0, v94, 56, 0
	v_lshl_add_u32 v54, v1, 3, v0
	v_lshlrev_b32_e32 v52, 3, v1
	v_lshlrev_b32_e32 v53, 3, v94
	ds_write2_b64 v54, v[40:41], v[50:51] offset1:1
	ds_write2_b64 v54, v[46:47], v[42:43] offset0:2 offset1:3
	ds_write2_b64 v54, v[44:45], v[48:49] offset0:4 offset1:5
	ds_write_b64 v54, v[2:3] offset:48
	s_waitcnt lgkmcnt(0)
	s_barrier
	s_waitcnt lgkmcnt(0)
                                        ; implicit-def: $vgpr6_vgpr7
	s_and_saveexec_b64 s[28:29], s[0:1]
	s_cbranch_execz .LBB0_12
; %bb.11:
	v_add3_u32 v1, 0, v52, v53
	ds_read_b64 v[40:41], v1
	v_mul_i32_i24_e32 v1, 0xffffffd0, v94
	v_add3_u32 v8, v0, v1, v52
	ds_read2_b64 v[0:3], v8 offset0:35 offset1:42
	ds_read2_b64 v[42:45], v8 offset0:21 offset1:28
	ds_read2_b64 v[55:58], v8 offset0:7 offset1:14
	ds_read2_b64 v[4:7], v8 offset0:49 offset1:56
	ds_read2_b64 v[8:11], v8 offset0:63 offset1:70
	s_waitcnt lgkmcnt(4)
	v_mov_b32_e32 v49, v1
	v_mov_b32_e32 v48, v0
	s_waitcnt lgkmcnt(2)
	v_mov_b32_e32 v46, v57
	v_mov_b32_e32 v50, v55
	;; [unrolled: 1-line block ×4, first 2 shown]
.LBB0_12:
	s_or_b64 exec, exec, s[28:29]
	v_add_f64 v[0:1], v[16:17], v[32:33]
	v_add_f64 v[16:17], v[28:29], v[36:37]
	v_add_f64 v[26:27], v[34:35], -v[26:27]
	v_add_f64 v[20:21], v[20:21], v[24:25]
	v_add_f64 v[18:19], v[18:19], -v[22:23]
	v_add_f64 v[14:15], v[30:31], -v[14:15]
	s_waitcnt lgkmcnt(0)
	s_barrier
	v_add_f64 v[22:23], v[16:17], v[0:1]
	v_add_f64 v[24:25], v[0:1], -v[20:21]
	v_add_f64 v[28:29], v[18:19], -v[26:27]
	v_add_f64 v[30:31], v[26:27], -v[14:15]
	v_add_f64 v[26:27], v[18:19], v[26:27]
	v_add_f64 v[18:19], v[14:15], -v[18:19]
	v_add_f64 v[0:1], v[16:17], -v[0:1]
	v_add_f64 v[22:23], v[20:21], v[22:23]
	v_add_f64 v[20:21], v[20:21], -v[16:17]
	v_mul_f64 v[32:33], v[24:25], s[6:7]
	v_mul_f64 v[28:29], v[28:29], s[26:27]
	;; [unrolled: 1-line block ×3, first 2 shown]
	v_add_f64 v[14:15], v[26:27], v[14:15]
	v_add_f64 v[24:25], v[12:13], v[22:23]
	v_mul_f64 v[12:13], v[20:21], s[4:5]
	v_fma_f64 v[16:17], v[20:21], s[4:5], v[32:33]
	v_fma_f64 v[20:21], v[18:19], s[22:23], v[28:29]
	v_fma_f64 v[26:27], v[30:31], s[16:17], -v[28:29]
	v_fma_f64 v[18:19], v[18:19], s[24:25], -v[34:35]
	;; [unrolled: 1-line block ×3, first 2 shown]
	v_fma_f64 v[22:23], v[22:23], s[18:19], v[24:25]
	v_fma_f64 v[0:1], v[0:1], s[10:11], -v[12:13]
	v_fma_f64 v[20:21], v[14:15], s[20:21], v[20:21]
	v_fma_f64 v[26:27], v[14:15], s[20:21], v[26:27]
	;; [unrolled: 1-line block ×3, first 2 shown]
	v_add_f64 v[16:17], v[16:17], v[22:23]
	v_add_f64 v[18:19], v[28:29], v[22:23]
	;; [unrolled: 1-line block ×3, first 2 shown]
	v_add_f64 v[34:35], v[16:17], -v[20:21]
	v_add_f64 v[0:1], v[18:19], -v[14:15]
	v_add_f64 v[12:13], v[26:27], v[22:23]
	v_add_f64 v[26:27], v[22:23], -v[26:27]
	v_add_f64 v[36:37], v[14:15], v[18:19]
	v_add_f64 v[14:15], v[20:21], v[16:17]
                                        ; implicit-def: $vgpr22_vgpr23
                                        ; implicit-def: $vgpr18_vgpr19
	ds_write2_b64 v54, v[24:25], v[34:35] offset1:1
	ds_write2_b64 v54, v[0:1], v[12:13] offset0:2 offset1:3
	ds_write2_b64 v54, v[26:27], v[36:37] offset0:4 offset1:5
	ds_write_b64 v54, v[14:15] offset:48
	s_waitcnt lgkmcnt(0)
	s_barrier
	s_and_saveexec_b64 s[4:5], s[0:1]
	s_cbranch_execnz .LBB0_15
; %bb.13:
	s_or_b64 exec, exec, s[4:5]
	s_and_b64 s[0:1], vcc, s[0:1]
	s_and_saveexec_b64 s[4:5], s[0:1]
	s_cbranch_execnz .LBB0_16
.LBB0_14:
	s_endpgm
.LBB0_15:
	v_add3_u32 v0, 0, v52, v53
	ds_read_b64 v[24:25], v0
	v_add3_u32 v0, 0, v53, v52
	ds_read2_b64 v[12:15], v0 offset0:35 offset1:42
	ds_read2_b64 v[28:31], v0 offset0:21 offset1:28
	;; [unrolled: 1-line block ×5, first 2 shown]
	s_waitcnt lgkmcnt(4)
	v_mov_b32_e32 v37, v13
	v_mov_b32_e32 v36, v12
	s_waitcnt lgkmcnt(2)
	v_mov_b32_e32 v0, v34
	v_mov_b32_e32 v26, v30
	;; [unrolled: 1-line block ×8, first 2 shown]
	s_or_b64 exec, exec, s[4:5]
	s_and_b64 s[0:1], vcc, s[0:1]
	s_and_saveexec_b64 s[4:5], s[0:1]
	s_cbranch_execz .LBB0_14
.LBB0_16:
	v_mul_u32_u24_e32 v28, 10, v94
	v_lshlrev_b32_e32 v28, 4, v28
	global_load_dwordx4 v[52:55], v28, s[8:9] offset:64
	global_load_dwordx4 v[30:33], v28, s[8:9] offset:80
	;; [unrolled: 1-line block ×8, first 2 shown]
	global_load_dwordx4 v[84:87], v28, s[8:9]
	global_load_dwordx4 v[88:91], v28, s[8:9] offset:16
	s_mov_b32 s4, 0xfd768dbf
	s_mov_b32 s5, 0xbfd207e7
	;; [unrolled: 1-line block ×26, first 2 shown]
	s_waitcnt vmcnt(9)
	v_mul_f64 v[60:61], v[36:37], v[54:55]
	s_waitcnt vmcnt(8)
	v_mul_f64 v[28:29], v[14:15], v[32:33]
	v_mul_f64 v[32:33], v[2:3], v[32:33]
	s_waitcnt vmcnt(7)
	v_mul_f64 v[66:67], v[26:27], v[58:59]
	s_waitcnt vmcnt(6)
	v_mul_f64 v[92:93], v[12:13], v[64:65]
	v_mul_f64 v[64:65], v[42:43], v[64:65]
	;; [unrolled: 1-line block ×3, first 2 shown]
	s_waitcnt vmcnt(2) lgkmcnt(0)
	v_mul_f64 v[101:102], v[22:23], v[82:83]
	v_mul_f64 v[82:83], v[10:11], v[82:83]
	s_waitcnt vmcnt(1)
	v_mul_f64 v[103:104], v[34:35], v[86:87]
	v_mul_f64 v[86:87], v[50:51], v[86:87]
	;; [unrolled: 1-line block ×6, first 2 shown]
	s_waitcnt vmcnt(0)
	v_mul_f64 v[105:106], v[0:1], v[90:91]
	v_mul_f64 v[90:91], v[46:47], v[90:91]
	v_fma_f64 v[28:29], v[2:3], v[30:31], v[28:29]
	v_fma_f64 v[30:31], v[14:15], v[30:31], -v[32:33]
	v_fma_f64 v[44:45], v[44:45], v[56:57], v[66:67]
	v_fma_f64 v[66:67], v[12:13], v[62:63], -v[64:65]
	;; [unrolled: 2-line block ×4, first 2 shown]
	v_mul_f64 v[54:55], v[48:49], v[54:55]
	v_mul_f64 v[95:96], v[16:17], v[70:71]
	v_mul_f64 v[70:71], v[4:5], v[70:71]
	v_fma_f64 v[32:33], v[48:49], v[52:53], v[60:61]
	v_fma_f64 v[48:49], v[26:27], v[56:57], -v[58:59]
	v_fma_f64 v[60:61], v[42:43], v[62:63], v[92:93]
	v_fma_f64 v[26:27], v[8:9], v[76:77], v[74:75]
	v_fma_f64 v[20:21], v[20:21], v[76:77], -v[78:79]
	v_fma_f64 v[74:75], v[46:47], v[88:89], v[105:106]
	v_fma_f64 v[78:79], v[0:1], v[88:89], -v[90:91]
	v_add_f64 v[103:104], v[80:81], -v[12:13]
	v_add_f64 v[92:93], v[84:85], -v[14:15]
	v_fma_f64 v[22:23], v[4:5], v[68:69], v[95:96]
	v_fma_f64 v[34:35], v[16:17], v[68:69], -v[70:71]
	v_fma_f64 v[16:17], v[6:7], v[72:73], v[97:98]
	v_fma_f64 v[18:19], v[18:19], v[72:73], -v[99:100]
	v_add_f64 v[68:69], v[84:85], v[14:15]
	v_add_f64 v[107:108], v[74:75], -v[26:27]
	v_add_f64 v[70:71], v[80:81], v[12:13]
	v_add_f64 v[88:89], v[78:79], -v[20:21]
	v_mul_f64 v[0:1], v[103:104], s[4:5]
	v_mul_f64 v[4:5], v[92:93], s[4:5]
	v_add_f64 v[58:59], v[78:79], v[20:21]
	v_add_f64 v[64:65], v[74:75], v[26:27]
	v_add_f64 v[90:91], v[60:61], -v[16:17]
	v_add_f64 v[82:83], v[66:67], -v[18:19]
	v_mul_f64 v[2:3], v[107:108], s[22:23]
	v_mul_f64 v[6:7], v[88:89], s[22:23]
	v_fma_f64 v[117:118], v[68:69], s[0:1], v[0:1]
	v_fma_f64 v[119:120], v[70:71], s[0:1], -v[4:5]
	v_fma_f64 v[36:37], v[36:37], v[52:53], -v[54:55]
	v_add_f64 v[54:55], v[66:67], v[18:19]
	v_add_f64 v[56:57], v[60:61], v[16:17]
	v_add_f64 v[86:87], v[44:45], -v[22:23]
	v_add_f64 v[76:77], v[48:49], -v[34:35]
	v_mul_f64 v[8:9], v[90:91], s[10:11]
	v_mul_f64 v[10:11], v[82:83], s[10:11]
	;; [unrolled: 1-line block ×3, first 2 shown]
	v_fma_f64 v[0:1], v[68:69], s[0:1], -v[0:1]
	v_fma_f64 v[121:122], v[58:59], s[6:7], v[2:3]
	v_fma_f64 v[4:5], v[70:71], s[0:1], v[4:5]
	v_fma_f64 v[123:124], v[64:65], s[6:7], -v[6:7]
	v_add_f64 v[117:118], v[24:25], v[117:118]
	v_add_f64 v[119:120], v[40:41], v[119:120]
	;; [unrolled: 1-line block ×4, first 2 shown]
	v_mul_f64 v[95:96], v[86:87], s[18:19]
	v_mul_f64 v[97:98], v[76:77], s[18:19]
	;; [unrolled: 1-line block ×4, first 2 shown]
	v_fma_f64 v[125:126], v[68:69], s[8:9], v[99:100]
	v_fma_f64 v[2:3], v[58:59], s[6:7], -v[2:3]
	v_fma_f64 v[6:7], v[64:65], s[6:7], v[6:7]
	v_fma_f64 v[129:130], v[54:55], s[8:9], v[8:9]
	v_fma_f64 v[131:132], v[56:57], s[8:9], -v[10:11]
	v_add_f64 v[0:1], v[24:25], v[0:1]
	v_add_f64 v[4:5], v[40:41], v[4:5]
	;; [unrolled: 1-line block ×4, first 2 shown]
	v_add_f64 v[72:73], v[32:33], -v[28:29]
	v_add_f64 v[62:63], v[36:37], -v[30:31]
	v_mul_f64 v[111:112], v[90:91], s[24:25]
	v_mul_f64 v[115:116], v[88:89], s[26:27]
	v_fma_f64 v[127:128], v[58:59], s[16:17], v[101:102]
	v_fma_f64 v[8:9], v[54:55], s[8:9], -v[8:9]
	v_fma_f64 v[10:11], v[56:57], s[8:9], v[10:11]
	v_fma_f64 v[121:122], v[50:51], s[14:15], v[95:96]
	v_fma_f64 v[123:124], v[52:53], s[14:15], -v[97:98]
	v_add_f64 v[125:126], v[24:25], v[125:126]
	v_add_f64 v[0:1], v[2:3], v[0:1]
	;; [unrolled: 1-line block ×5, first 2 shown]
	v_fma_f64 v[119:120], v[70:71], s[8:9], -v[113:114]
	v_add_f64 v[42:43], v[36:37], v[30:31]
	v_add_f64 v[46:47], v[32:33], v[28:29]
	v_mul_f64 v[105:106], v[72:73], s[20:21]
	v_mul_f64 v[109:110], v[62:63], s[20:21]
	v_fma_f64 v[95:96], v[50:51], s[14:15], -v[95:96]
	v_add_f64 v[125:126], v[127:128], v[125:126]
	v_add_f64 v[0:1], v[8:9], v[0:1]
	;; [unrolled: 1-line block ×5, first 2 shown]
	v_mul_f64 v[121:122], v[86:87], s[4:5]
	v_fma_f64 v[8:9], v[54:55], s[6:7], v[111:112]
	v_add_f64 v[10:11], v[40:41], v[119:120]
	v_fma_f64 v[119:120], v[64:65], s[16:17], -v[115:116]
	v_mul_f64 v[123:124], v[82:83], s[24:25]
	v_fma_f64 v[97:98], v[52:53], s[14:15], v[97:98]
	v_fma_f64 v[117:118], v[42:43], s[16:17], v[105:106]
	v_fma_f64 v[127:128], v[46:47], s[16:17], -v[109:110]
	v_add_f64 v[95:96], v[95:96], v[0:1]
	v_fma_f64 v[105:106], v[42:43], s[16:17], -v[105:106]
	v_add_f64 v[8:9], v[8:9], v[125:126]
	v_fma_f64 v[125:126], v[50:51], s[0:1], v[121:122]
	v_add_f64 v[10:11], v[119:120], v[10:11]
	v_fma_f64 v[119:120], v[56:57], s[6:7], -v[123:124]
	v_mul_f64 v[129:130], v[76:77], s[4:5]
	v_mul_f64 v[131:132], v[72:73], s[18:19]
	v_fma_f64 v[109:110], v[46:47], s[16:17], v[109:110]
	v_add_f64 v[97:98], v[97:98], v[2:3]
	v_add_f64 v[2:3], v[117:118], v[4:5]
	;; [unrolled: 1-line block ×4, first 2 shown]
	v_fma_f64 v[6:7], v[68:69], s[8:9], -v[99:100]
	v_add_f64 v[99:100], v[119:120], v[10:11]
	v_fma_f64 v[117:118], v[52:53], s[0:1], -v[129:130]
	v_fma_f64 v[119:120], v[42:43], s[14:15], v[131:132]
	v_add_f64 v[10:11], v[105:106], v[95:96]
	v_fma_f64 v[105:106], v[70:71], s[8:9], v[113:114]
	v_mul_f64 v[95:96], v[62:63], s[18:19]
	v_fma_f64 v[101:102], v[58:59], s[16:17], -v[101:102]
	v_add_f64 v[113:114], v[24:25], v[6:7]
	v_add_f64 v[8:9], v[109:110], v[97:98]
	;; [unrolled: 1-line block ×4, first 2 shown]
	v_mul_f64 v[99:100], v[103:104], s[20:21]
	v_fma_f64 v[4:5], v[64:65], s[16:17], v[115:116]
	v_add_f64 v[105:106], v[40:41], v[105:106]
	v_fma_f64 v[109:110], v[46:47], s[14:15], -v[95:96]
	v_add_f64 v[101:102], v[101:102], v[113:114]
	v_fma_f64 v[111:112], v[54:55], s[6:7], -v[111:112]
	v_mul_f64 v[115:116], v[107:108], s[28:29]
	v_fma_f64 v[117:118], v[56:57], s[6:7], v[123:124]
	v_fma_f64 v[113:114], v[68:69], s[16:17], v[99:100]
	v_mul_f64 v[119:120], v[92:93], s[20:21]
	v_add_f64 v[105:106], v[4:5], v[105:106]
	v_add_f64 v[4:5], v[109:110], v[97:98]
	v_fma_f64 v[123:124], v[52:53], s[0:1], v[129:130]
	v_add_f64 v[97:98], v[111:112], v[101:102]
	v_fma_f64 v[101:102], v[50:51], s[0:1], -v[121:122]
	v_fma_f64 v[111:112], v[58:59], s[0:1], v[115:116]
	v_add_f64 v[109:110], v[24:25], v[113:114]
	v_mul_f64 v[113:114], v[90:91], s[18:19]
	v_add_f64 v[105:106], v[117:118], v[105:106]
	v_fma_f64 v[117:118], v[70:71], s[16:17], -v[119:120]
	v_mul_f64 v[121:122], v[88:89], s[28:29]
	v_mul_f64 v[125:126], v[86:87], s[24:25]
	v_add_f64 v[97:98], v[101:102], v[97:98]
	v_fma_f64 v[101:102], v[42:43], s[14:15], -v[131:132]
	v_add_f64 v[109:110], v[111:112], v[109:110]
	v_fma_f64 v[111:112], v[54:55], s[14:15], v[113:114]
	v_mul_f64 v[129:130], v[82:83], s[18:19]
	v_add_f64 v[117:118], v[40:41], v[117:118]
	v_fma_f64 v[127:128], v[64:65], s[0:1], -v[121:122]
	v_add_f64 v[105:106], v[123:124], v[105:106]
	v_fma_f64 v[95:96], v[46:47], s[14:15], v[95:96]
	v_add_f64 v[97:98], v[101:102], v[97:98]
	v_fma_f64 v[99:100], v[68:69], s[16:17], -v[99:100]
	v_add_f64 v[101:102], v[111:112], v[109:110]
	v_fma_f64 v[109:110], v[50:51], s[6:7], v[125:126]
	v_mul_f64 v[123:124], v[76:77], s[24:25]
	v_add_f64 v[111:112], v[127:128], v[117:118]
	v_fma_f64 v[117:118], v[56:57], s[14:15], -v[129:130]
	v_add_f64 v[95:96], v[95:96], v[105:106]
	v_fma_f64 v[105:106], v[70:71], s[16:17], v[119:120]
	v_mul_f64 v[119:120], v[72:73], s[10:11]
	v_fma_f64 v[115:116], v[58:59], s[0:1], -v[115:116]
	v_add_f64 v[99:100], v[24:25], v[99:100]
	v_add_f64 v[101:102], v[109:110], v[101:102]
	s_mov_b32 s19, 0xbfed1bb4
	v_add_f64 v[109:110], v[117:118], v[111:112]
	v_fma_f64 v[111:112], v[52:53], s[6:7], -v[123:124]
	v_fma_f64 v[117:118], v[64:65], s[0:1], v[121:122]
	v_add_f64 v[105:106], v[40:41], v[105:106]
	v_fma_f64 v[121:122], v[42:43], s[8:9], v[119:120]
	v_mul_f64 v[127:128], v[62:63], s[10:11]
	v_add_f64 v[99:100], v[115:116], v[99:100]
	v_fma_f64 v[113:114], v[54:55], s[14:15], -v[113:114]
	v_mul_f64 v[115:116], v[103:104], s[18:19]
	v_add_f64 v[109:110], v[111:112], v[109:110]
	v_fma_f64 v[111:112], v[56:57], s[14:15], v[129:130]
	v_add_f64 v[105:106], v[117:118], v[105:106]
	v_mul_f64 v[117:118], v[92:93], s[18:19]
	v_add_f64 v[101:102], v[121:122], v[101:102]
	v_fma_f64 v[121:122], v[46:47], s[8:9], -v[127:128]
	v_add_f64 v[113:114], v[113:114], v[99:100]
	v_fma_f64 v[129:130], v[68:69], s[14:15], v[115:116]
	v_mul_f64 v[131:132], v[107:108], s[10:11]
	v_fma_f64 v[125:126], v[50:51], s[6:7], -v[125:126]
	v_add_f64 v[105:106], v[111:112], v[105:106]
	v_fma_f64 v[111:112], v[70:71], s[14:15], -v[117:118]
	v_mul_f64 v[133:134], v[88:89], s[10:11]
	v_fma_f64 v[123:124], v[52:53], s[6:7], v[123:124]
	v_add_f64 v[99:100], v[121:122], v[109:110]
	v_add_f64 v[109:110], v[24:25], v[129:130]
	v_fma_f64 v[121:122], v[58:59], s[8:9], v[131:132]
	v_mul_f64 v[129:130], v[90:91], s[28:29]
	v_add_f64 v[113:114], v[125:126], v[113:114]
	v_add_f64 v[111:112], v[40:41], v[111:112]
	v_fma_f64 v[125:126], v[64:65], s[8:9], -v[133:134]
	v_mul_f64 v[135:136], v[82:83], s[28:29]
	v_add_f64 v[80:81], v[40:41], v[80:81]
	v_add_f64 v[84:85], v[24:25], v[84:85]
	;; [unrolled: 1-line block ×3, first 2 shown]
	v_fma_f64 v[105:106], v[42:43], s[8:9], -v[119:120]
	v_add_f64 v[109:110], v[121:122], v[109:110]
	v_fma_f64 v[119:120], v[54:55], s[0:1], v[129:130]
	v_mul_f64 v[121:122], v[86:87], s[26:27]
	v_add_f64 v[111:112], v[125:126], v[111:112]
	v_fma_f64 v[115:116], v[68:69], s[14:15], -v[115:116]
	v_fma_f64 v[125:126], v[56:57], s[0:1], -v[135:136]
	v_mul_f64 v[137:138], v[76:77], s[26:27]
	v_fma_f64 v[117:118], v[70:71], s[14:15], v[117:118]
	v_add_f64 v[74:75], v[74:75], v[80:81]
	v_add_f64 v[78:79], v[78:79], v[84:85]
	;; [unrolled: 1-line block ×4, first 2 shown]
	v_fma_f64 v[113:114], v[50:51], s[16:17], v[121:122]
	v_fma_f64 v[119:120], v[58:59], s[8:9], -v[131:132]
	v_add_f64 v[115:116], v[24:25], v[115:116]
	v_add_f64 v[111:112], v[125:126], v[111:112]
	v_fma_f64 v[125:126], v[52:53], s[16:17], -v[137:138]
	v_mul_f64 v[131:132], v[72:73], s[22:23]
	v_mul_f64 v[139:140], v[62:63], s[22:23]
	v_fma_f64 v[133:134], v[64:65], s[8:9], v[133:134]
	v_add_f64 v[117:118], v[40:41], v[117:118]
	v_add_f64 v[60:61], v[60:61], v[74:75]
	;; [unrolled: 1-line block ×5, first 2 shown]
	v_fma_f64 v[115:116], v[54:55], s[0:1], -v[129:130]
	v_add_f64 v[111:112], v[125:126], v[111:112]
	v_fma_f64 v[119:120], v[42:43], s[6:7], v[131:132]
	v_mul_f64 v[125:126], v[103:104], s[24:25]
	v_fma_f64 v[127:128], v[46:47], s[8:9], v[127:128]
	v_fma_f64 v[129:130], v[46:47], s[6:7], -v[139:140]
	v_add_f64 v[117:118], v[133:134], v[117:118]
	v_fma_f64 v[133:134], v[56:57], s[0:1], v[135:136]
	v_mul_f64 v[92:93], v[92:93], s[24:25]
	v_add_f64 v[44:45], v[44:45], v[60:61]
	v_add_f64 v[48:49], v[48:49], v[66:67]
	;; [unrolled: 1-line block ×3, first 2 shown]
	v_fma_f64 v[115:116], v[50:51], s[16:17], -v[121:122]
	v_add_f64 v[109:110], v[119:120], v[109:110]
	v_fma_f64 v[119:120], v[68:69], s[6:7], v[125:126]
	v_mul_f64 v[121:122], v[107:108], s[18:19]
	v_add_f64 v[103:104], v[127:128], v[123:124]
	v_add_f64 v[107:108], v[129:130], v[111:112]
	;; [unrolled: 1-line block ×3, first 2 shown]
	v_fma_f64 v[117:118], v[52:53], s[16:17], v[137:138]
	v_fma_f64 v[123:124], v[70:71], s[6:7], -v[92:93]
	v_mul_f64 v[88:89], v[88:89], s[18:19]
	v_fma_f64 v[60:61], v[68:69], s[6:7], -v[125:126]
	v_fma_f64 v[70:71], v[70:71], s[6:7], v[92:93]
	v_add_f64 v[32:33], v[32:33], v[44:45]
	v_add_f64 v[36:37], v[36:37], v[48:49]
	;; [unrolled: 1-line block ×4, first 2 shown]
	v_fma_f64 v[119:120], v[58:59], s[14:15], v[121:122]
	v_mul_f64 v[90:91], v[90:91], s[20:21]
	v_add_f64 v[111:112], v[117:118], v[111:112]
	v_fma_f64 v[84:85], v[42:43], s[6:7], -v[131:132]
	v_add_f64 v[117:118], v[40:41], v[123:124]
	v_mul_f64 v[82:83], v[82:83], s[20:21]
	v_fma_f64 v[44:45], v[58:59], s[14:15], -v[121:122]
	v_add_f64 v[24:25], v[24:25], v[60:61]
	v_fma_f64 v[58:59], v[64:65], s[14:15], v[88:89]
	v_add_f64 v[40:41], v[40:41], v[70:71]
	v_add_f64 v[28:29], v[28:29], v[32:33]
	;; [unrolled: 1-line block ×4, first 2 shown]
	v_fma_f64 v[80:81], v[54:55], s[16:17], v[90:91]
	v_mul_f64 v[86:87], v[86:87], s[10:11]
	v_add_f64 v[78:79], v[84:85], v[113:114]
	v_mul_f64 v[113:114], v[76:77], s[10:11]
	v_fma_f64 v[32:33], v[54:55], s[16:17], -v[90:91]
	v_add_f64 v[24:25], v[44:45], v[24:25]
	v_fma_f64 v[44:45], v[56:57], s[16:17], v[82:83]
	v_add_f64 v[40:41], v[58:59], v[40:41]
	v_add_f64 v[22:23], v[22:23], v[28:29]
	;; [unrolled: 1-line block ×3, first 2 shown]
	v_fma_f64 v[119:120], v[64:65], s[14:15], -v[88:89]
	v_add_f64 v[74:75], v[80:81], v[115:116]
	v_fma_f64 v[80:81], v[50:51], s[8:9], v[86:87]
	v_mul_f64 v[36:37], v[72:73], s[4:5]
	v_mul_f64 v[54:55], v[62:63], s[4:5]
	v_fma_f64 v[28:29], v[50:51], s[8:9], -v[86:87]
	v_add_f64 v[24:25], v[32:33], v[24:25]
	v_fma_f64 v[32:33], v[52:53], s[8:9], v[113:114]
	v_add_f64 v[40:41], v[44:45], v[40:41]
	v_add_f64 v[16:17], v[16:17], v[22:23]
	v_add_f64 v[30:31], v[18:19], v[30:31]
	v_add_f64 v[84:85], v[119:120], v[117:118]
	v_fma_f64 v[66:67], v[56:57], s[16:17], -v[82:83]
	v_add_f64 v[68:69], v[80:81], v[74:75]
	v_fma_f64 v[34:35], v[42:43], s[0:1], v[36:37]
	v_fma_f64 v[22:23], v[42:43], s[0:1], -v[36:37]
	v_add_f64 v[24:25], v[28:29], v[24:25]
	v_fma_f64 v[28:29], v[46:47], s[0:1], v[54:55]
	v_add_f64 v[32:33], v[32:33], v[40:41]
	v_add_f64 v[26:27], v[26:27], v[16:17]
	;; [unrolled: 1-line block ×4, first 2 shown]
	v_fma_f64 v[66:67], v[52:53], s[8:9], -v[113:114]
	v_add_f64 v[18:19], v[34:35], v[68:69]
	v_fma_f64 v[34:35], v[46:47], s[0:1], -v[54:55]
	v_mad_u64_u32 v[36:37], s[0:1], s2, v94, 0
	v_add_f64 v[22:23], v[22:23], v[24:25]
	v_add_f64 v[12:13], v[12:13], v[26:27]
	v_mov_b32_e32 v20, v37
	v_mad_u64_u32 v[24:25], s[0:1], s3, v94, v[20:21]
	v_add_f64 v[20:21], v[28:29], v[32:33]
	v_add_u32_e32 v28, 7, v94
	v_mad_u64_u32 v[26:27], s[0:1], s2, v28, 0
	v_add_f64 v[14:15], v[14:15], v[30:31]
	v_add_f64 v[48:49], v[66:67], v[48:49]
	v_mov_b32_e32 v37, v24
	v_mov_b32_e32 v24, s13
	v_add_co_u32_e32 v30, vcc, s12, v38
	v_mad_u64_u32 v[27:28], s[0:1], s3, v28, v[27:28]
	v_add_u32_e32 v32, 14, v94
	v_addc_co_u32_e32 v31, vcc, v24, v39, vcc
	v_lshlrev_b64 v[24:25], 4, v[36:37]
	v_mad_u64_u32 v[28:29], s[0:1], s2, v32, 0
	v_fma_f64 v[123:124], v[46:47], s[6:7], v[139:140]
	v_add_co_u32_e32 v24, vcc, v30, v24
	v_addc_co_u32_e32 v25, vcc, v31, v25, vcc
	global_store_dwordx4 v[24:25], v[12:15], off
	v_add_f64 v[16:17], v[34:35], v[48:49]
	v_lshlrev_b64 v[12:13], 4, v[26:27]
	v_mov_b32_e32 v14, v29
	v_mad_u64_u32 v[14:15], s[0:1], s3, v32, v[14:15]
	v_add_co_u32_e32 v12, vcc, v30, v12
	v_addc_co_u32_e32 v13, vcc, v31, v13, vcc
	global_store_dwordx4 v[12:13], v[20:23], off
	v_mov_b32_e32 v29, v14
	v_add_u32_e32 v20, 21, v94
	v_mad_u64_u32 v[14:15], s[0:1], s2, v20, 0
	v_add_f64 v[76:77], v[123:124], v[111:112]
	v_add_u32_e32 v23, 28, v94
	v_mad_u64_u32 v[20:21], s[0:1], s3, v20, v[15:16]
	v_lshlrev_b64 v[12:13], 4, v[28:29]
	v_mad_u64_u32 v[21:22], s[0:1], s2, v23, 0
	v_add_co_u32_e32 v12, vcc, v30, v12
	v_addc_co_u32_e32 v13, vcc, v31, v13, vcc
	v_mov_b32_e32 v15, v20
	global_store_dwordx4 v[12:13], v[76:79], off
	v_lshlrev_b64 v[12:13], 4, v[14:15]
	v_mov_b32_e32 v14, v22
	v_mad_u64_u32 v[14:15], s[0:1], s3, v23, v[14:15]
	v_add_u32_e32 v20, 35, v94
	v_add_co_u32_e32 v12, vcc, v30, v12
	v_mov_b32_e32 v22, v14
	v_mad_u64_u32 v[14:15], s[0:1], s2, v20, 0
	v_addc_co_u32_e32 v13, vcc, v31, v13, vcc
	global_store_dwordx4 v[12:13], v[103:106], off
	v_lshlrev_b64 v[12:13], 4, v[21:22]
	v_mad_u64_u32 v[20:21], s[0:1], s3, v20, v[15:16]
	v_add_co_u32_e32 v12, vcc, v30, v12
	v_addc_co_u32_e32 v13, vcc, v31, v13, vcc
	v_add_u32_e32 v23, 42, v94
	v_mov_b32_e32 v15, v20
	v_mad_u64_u32 v[21:22], s[0:1], s2, v23, 0
	global_store_dwordx4 v[12:13], v[95:98], off
	v_lshlrev_b64 v[12:13], 4, v[14:15]
	v_mov_b32_e32 v14, v22
	v_add_co_u32_e32 v12, vcc, v30, v12
	v_addc_co_u32_e32 v13, vcc, v31, v13, vcc
	global_store_dwordx4 v[12:13], v[8:11], off
	v_add_u32_e32 v12, 49, v94
	v_mad_u64_u32 v[14:15], s[0:1], s3, v23, v[14:15]
	v_mad_u64_u32 v[10:11], s[0:1], s2, v12, 0
	v_mov_b32_e32 v22, v14
	v_or_b32_e32 v14, 56, v94
	v_mad_u64_u32 v[11:12], s[0:1], s3, v12, v[11:12]
	v_lshlrev_b64 v[8:9], 4, v[21:22]
	v_mad_u64_u32 v[12:13], s[0:1], s2, v14, 0
	v_add_co_u32_e32 v8, vcc, v30, v8
	v_addc_co_u32_e32 v9, vcc, v31, v9, vcc
	global_store_dwordx4 v[8:9], v[0:3], off
	s_nop 0
	v_lshlrev_b64 v[0:1], 4, v[10:11]
	v_mov_b32_e32 v2, v13
	v_mad_u64_u32 v[2:3], s[0:1], s3, v14, v[2:3]
	v_add_co_u32_e32 v0, vcc, v30, v0
	v_addc_co_u32_e32 v1, vcc, v31, v1, vcc
	global_store_dwordx4 v[0:1], v[4:7], off
	v_mov_b32_e32 v13, v2
	v_add_u32_e32 v4, 63, v94
	v_mad_u64_u32 v[2:3], s[0:1], s2, v4, 0
	v_add_u32_e32 v6, 0x46, v94
	v_lshlrev_b64 v[0:1], 4, v[12:13]
	v_mad_u64_u32 v[3:4], s[0:1], s3, v4, v[3:4]
	v_mad_u64_u32 v[4:5], s[0:1], s2, v6, 0
	v_add_co_u32_e32 v0, vcc, v30, v0
	v_addc_co_u32_e32 v1, vcc, v31, v1, vcc
	global_store_dwordx4 v[0:1], v[99:102], off
	v_lshlrev_b64 v[0:1], 4, v[2:3]
	v_mov_b32_e32 v2, v5
	v_mad_u64_u32 v[2:3], s[0:1], s3, v6, v[2:3]
	v_add_co_u32_e32 v0, vcc, v30, v0
	v_addc_co_u32_e32 v1, vcc, v31, v1, vcc
	v_mov_b32_e32 v5, v2
	global_store_dwordx4 v[0:1], v[107:110], off
	v_lshlrev_b64 v[0:1], 4, v[4:5]
	v_add_co_u32_e32 v0, vcc, v30, v0
	v_addc_co_u32_e32 v1, vcc, v31, v1, vcc
	global_store_dwordx4 v[0:1], v[16:19], off
	s_endpgm
	.section	.rodata,"a",@progbits
	.p2align	6, 0x0
	.amdhsa_kernel fft_rtc_back_len77_factors_7_11_wgs_253_tpt_11_halfLds_dp_ip_CI_sbrr_dirReg
		.amdhsa_group_segment_fixed_size 0
		.amdhsa_private_segment_fixed_size 0
		.amdhsa_kernarg_size 88
		.amdhsa_user_sgpr_count 6
		.amdhsa_user_sgpr_private_segment_buffer 1
		.amdhsa_user_sgpr_dispatch_ptr 0
		.amdhsa_user_sgpr_queue_ptr 0
		.amdhsa_user_sgpr_kernarg_segment_ptr 1
		.amdhsa_user_sgpr_dispatch_id 0
		.amdhsa_user_sgpr_flat_scratch_init 0
		.amdhsa_user_sgpr_private_segment_size 0
		.amdhsa_uses_dynamic_stack 0
		.amdhsa_system_sgpr_private_segment_wavefront_offset 0
		.amdhsa_system_sgpr_workgroup_id_x 1
		.amdhsa_system_sgpr_workgroup_id_y 0
		.amdhsa_system_sgpr_workgroup_id_z 0
		.amdhsa_system_sgpr_workgroup_info 0
		.amdhsa_system_vgpr_workitem_id 0
		.amdhsa_next_free_vgpr 141
		.amdhsa_next_free_sgpr 30
		.amdhsa_reserve_vcc 1
		.amdhsa_reserve_flat_scratch 0
		.amdhsa_float_round_mode_32 0
		.amdhsa_float_round_mode_16_64 0
		.amdhsa_float_denorm_mode_32 3
		.amdhsa_float_denorm_mode_16_64 3
		.amdhsa_dx10_clamp 1
		.amdhsa_ieee_mode 1
		.amdhsa_fp16_overflow 0
		.amdhsa_exception_fp_ieee_invalid_op 0
		.amdhsa_exception_fp_denorm_src 0
		.amdhsa_exception_fp_ieee_div_zero 0
		.amdhsa_exception_fp_ieee_overflow 0
		.amdhsa_exception_fp_ieee_underflow 0
		.amdhsa_exception_fp_ieee_inexact 0
		.amdhsa_exception_int_div_zero 0
	.end_amdhsa_kernel
	.text
.Lfunc_end0:
	.size	fft_rtc_back_len77_factors_7_11_wgs_253_tpt_11_halfLds_dp_ip_CI_sbrr_dirReg, .Lfunc_end0-fft_rtc_back_len77_factors_7_11_wgs_253_tpt_11_halfLds_dp_ip_CI_sbrr_dirReg
                                        ; -- End function
	.section	.AMDGPU.csdata,"",@progbits
; Kernel info:
; codeLenInByte = 6312
; NumSgprs: 34
; NumVgprs: 141
; ScratchSize: 0
; MemoryBound: 1
; FloatMode: 240
; IeeeMode: 1
; LDSByteSize: 0 bytes/workgroup (compile time only)
; SGPRBlocks: 4
; VGPRBlocks: 35
; NumSGPRsForWavesPerEU: 34
; NumVGPRsForWavesPerEU: 141
; Occupancy: 1
; WaveLimiterHint : 1
; COMPUTE_PGM_RSRC2:SCRATCH_EN: 0
; COMPUTE_PGM_RSRC2:USER_SGPR: 6
; COMPUTE_PGM_RSRC2:TRAP_HANDLER: 0
; COMPUTE_PGM_RSRC2:TGID_X_EN: 1
; COMPUTE_PGM_RSRC2:TGID_Y_EN: 0
; COMPUTE_PGM_RSRC2:TGID_Z_EN: 0
; COMPUTE_PGM_RSRC2:TIDIG_COMP_CNT: 0
	.type	__hip_cuid_abaa2cc8846ffe54,@object ; @__hip_cuid_abaa2cc8846ffe54
	.section	.bss,"aw",@nobits
	.globl	__hip_cuid_abaa2cc8846ffe54
__hip_cuid_abaa2cc8846ffe54:
	.byte	0                               ; 0x0
	.size	__hip_cuid_abaa2cc8846ffe54, 1

	.ident	"AMD clang version 19.0.0git (https://github.com/RadeonOpenCompute/llvm-project roc-6.4.0 25133 c7fe45cf4b819c5991fe208aaa96edf142730f1d)"
	.section	".note.GNU-stack","",@progbits
	.addrsig
	.addrsig_sym __hip_cuid_abaa2cc8846ffe54
	.amdgpu_metadata
---
amdhsa.kernels:
  - .args:
      - .actual_access:  read_only
        .address_space:  global
        .offset:         0
        .size:           8
        .value_kind:     global_buffer
      - .offset:         8
        .size:           8
        .value_kind:     by_value
      - .actual_access:  read_only
        .address_space:  global
        .offset:         16
        .size:           8
        .value_kind:     global_buffer
      - .actual_access:  read_only
        .address_space:  global
        .offset:         24
        .size:           8
        .value_kind:     global_buffer
      - .offset:         32
        .size:           8
        .value_kind:     by_value
      - .actual_access:  read_only
        .address_space:  global
        .offset:         40
        .size:           8
        .value_kind:     global_buffer
      - .actual_access:  read_only
        .address_space:  global
        .offset:         48
        .size:           8
        .value_kind:     global_buffer
      - .offset:         56
        .size:           4
        .value_kind:     by_value
      - .actual_access:  read_only
        .address_space:  global
        .offset:         64
        .size:           8
        .value_kind:     global_buffer
      - .actual_access:  read_only
        .address_space:  global
        .offset:         72
        .size:           8
        .value_kind:     global_buffer
      - .address_space:  global
        .offset:         80
        .size:           8
        .value_kind:     global_buffer
    .group_segment_fixed_size: 0
    .kernarg_segment_align: 8
    .kernarg_segment_size: 88
    .language:       OpenCL C
    .language_version:
      - 2
      - 0
    .max_flat_workgroup_size: 253
    .name:           fft_rtc_back_len77_factors_7_11_wgs_253_tpt_11_halfLds_dp_ip_CI_sbrr_dirReg
    .private_segment_fixed_size: 0
    .sgpr_count:     34
    .sgpr_spill_count: 0
    .symbol:         fft_rtc_back_len77_factors_7_11_wgs_253_tpt_11_halfLds_dp_ip_CI_sbrr_dirReg.kd
    .uniform_work_group_size: 1
    .uses_dynamic_stack: false
    .vgpr_count:     141
    .vgpr_spill_count: 0
    .wavefront_size: 64
amdhsa.target:   amdgcn-amd-amdhsa--gfx906
amdhsa.version:
  - 1
  - 2
...

	.end_amdgpu_metadata
